;; amdgpu-corpus repo=ROCm/rocFFT kind=compiled arch=gfx906 opt=O3
	.text
	.amdgcn_target "amdgcn-amd-amdhsa--gfx906"
	.amdhsa_code_object_version 6
	.protected	fft_rtc_fwd_len50_factors_2_5_5_wgs_125_tpt_5_dim1_sp_op_CI_CI_unitstride_sbrr_R2C_dirReg ; -- Begin function fft_rtc_fwd_len50_factors_2_5_5_wgs_125_tpt_5_dim1_sp_op_CI_CI_unitstride_sbrr_R2C_dirReg
	.globl	fft_rtc_fwd_len50_factors_2_5_5_wgs_125_tpt_5_dim1_sp_op_CI_CI_unitstride_sbrr_R2C_dirReg
	.p2align	8
	.type	fft_rtc_fwd_len50_factors_2_5_5_wgs_125_tpt_5_dim1_sp_op_CI_CI_unitstride_sbrr_R2C_dirReg,@function
fft_rtc_fwd_len50_factors_2_5_5_wgs_125_tpt_5_dim1_sp_op_CI_CI_unitstride_sbrr_R2C_dirReg: ; @fft_rtc_fwd_len50_factors_2_5_5_wgs_125_tpt_5_dim1_sp_op_CI_CI_unitstride_sbrr_R2C_dirReg
; %bb.0:
	v_mul_u32_u24_e32 v1, 0x3334, v0
	v_lshrrev_b32_e32 v2, 16, v1
	v_mad_u64_u32 v[5:6], s[0:1], s6, 25, v[2:3]
	s_mov_b32 s0, 0x51eb851f
	v_mov_b32_e32 v6, 0
	v_mul_hi_u32 v1, v5, s0
	s_load_dwordx2 s[2:3], s[4:5], 0x0
	s_load_dwordx2 s[0:1], s[4:5], 0x20
	s_movk_i32 s6, 0x3334
                                        ; implicit-def: $vgpr4
                                        ; implicit-def: $vgpr3
                                        ; implicit-def: $vgpr7
	v_lshrrev_b32_e32 v1, 3, v1
	v_mul_lo_u32 v1, v1, 25
	s_waitcnt lgkmcnt(0)
	v_cmp_gt_u64_e32 vcc, s[0:1], v[5:6]
	v_cmp_le_u64_e64 s[0:1], s[0:1], v[5:6]
                                        ; implicit-def: $vgpr6
	v_sub_u32_e32 v8, v5, v1
                                        ; implicit-def: $vgpr1
	s_and_saveexec_b64 s[8:9], s[0:1]
	s_xor_b64 s[0:1], exec, s[8:9]
; %bb.1:
	v_mul_u32_u24_sdwa v1, v0, s6 dst_sel:DWORD dst_unused:UNUSED_PAD src0_sel:WORD_0 src1_sel:DWORD
	v_mov_b32_e32 v2, 5
	v_mul_lo_u16_sdwa v1, v1, v2 dst_sel:DWORD dst_unused:UNUSED_PAD src0_sel:WORD_1 src1_sel:DWORD
	v_sub_u16_e32 v4, v0, v1
	v_sub_u16_e32 v1, v0, v1
	v_add_u32_e32 v3, 5, v1
	v_add_u32_e32 v7, 10, v1
	;; [unrolled: 1-line block ×3, first 2 shown]
                                        ; implicit-def: $vgpr2
                                        ; implicit-def: $vgpr0
; %bb.2:
	s_or_saveexec_b64 s[6:7], s[0:1]
	s_load_dwordx2 s[8:9], s[4:5], 0x18
	v_mul_u32_u24_e32 v8, 51, v8
	v_lshlrev_b32_e32 v8, 3, v8
	s_xor_b64 exec, exec, s[6:7]
	s_cbranch_execz .LBB0_4
; %bb.3:
	s_load_dwordx2 s[0:1], s[4:5], 0x10
	s_load_dwordx2 s[10:11], s[4:5], 0x50
	v_mul_lo_u16_e32 v29, 5, v2
	s_waitcnt lgkmcnt(0)
	s_load_dwordx2 s[0:1], s[0:1], 0x8
	s_waitcnt lgkmcnt(0)
	v_mad_u64_u32 v[3:4], s[12:13], s0, v5, 0
	v_mov_b32_e32 v1, v4
	v_mad_u64_u32 v[6:7], s[0:1], s1, v5, v[1:2]
	v_sub_u16_e32 v1, v0, v29
	v_mov_b32_e32 v7, s11
	v_mov_b32_e32 v4, v6
	v_lshlrev_b64 v[2:3], 3, v[3:4]
	v_lshlrev_b32_e32 v30, 3, v1
	v_add_co_u32_e64 v2, s[0:1], s10, v2
	v_addc_co_u32_e64 v3, s[0:1], v7, v3, s[0:1]
	v_add_co_u32_e64 v2, s[0:1], v2, v30
	v_addc_co_u32_e64 v3, s[0:1], 0, v3, s[0:1]
	global_load_dwordx2 v[9:10], v[2:3], off
	global_load_dwordx2 v[11:12], v[2:3], off offset:40
	global_load_dwordx2 v[13:14], v[2:3], off offset:80
	;; [unrolled: 1-line block ×9, first 2 shown]
	v_sub_u16_e32 v4, v0, v29
	v_add_u32_e32 v3, 5, v1
	v_add_u32_e32 v7, 10, v1
	;; [unrolled: 1-line block ×3, first 2 shown]
	v_add3_u32 v0, 0, v8, v30
	s_waitcnt vmcnt(8)
	ds_write2_b64 v0, v[9:10], v[11:12] offset1:5
	s_waitcnt vmcnt(6)
	ds_write2_b64 v0, v[13:14], v[15:16] offset0:10 offset1:15
	s_waitcnt vmcnt(4)
	ds_write2_b64 v0, v[17:18], v[19:20] offset0:20 offset1:25
	s_waitcnt vmcnt(2)
	ds_write2_b64 v0, v[21:22], v[23:24] offset0:30 offset1:35
	s_waitcnt vmcnt(0)
	ds_write2_b64 v0, v[25:26], v[27:28] offset0:40 offset1:45
.LBB0_4:
	s_or_b64 exec, exec, s[6:7]
	v_lshlrev_b32_e32 v2, 3, v1
	v_add_u32_e32 v0, 0, v8
	v_add3_u32 v8, 0, v2, v8
	s_waitcnt lgkmcnt(0)
	s_load_dwordx2 s[6:7], s[8:9], 0x8
	s_waitcnt lgkmcnt(0)
	s_barrier
	v_add_u32_e32 v13, v0, v2
	ds_read2_b64 v[9:12], v8 offset0:25 offset1:30
	ds_read_b64 v[22:23], v13
	ds_read2_b64 v[14:17], v8 offset0:5 offset1:10
	ds_read_b64 v[24:25], v8 offset:360
	ds_read2_b64 v[18:21], v8 offset0:35 offset1:40
	v_add_u32_e32 v30, v8, v2
	s_waitcnt lgkmcnt(3)
	v_sub_f32_e32 v26, v22, v9
	v_sub_f32_e32 v27, v23, v10
	s_waitcnt lgkmcnt(2)
	v_sub_f32_e32 v28, v14, v11
	v_sub_f32_e32 v29, v15, v12
	ds_read2_b64 v[9:12], v8 offset0:15 offset1:20
	v_fma_f32 v14, v14, 2.0, -v28
	v_fma_f32 v15, v15, 2.0, -v29
	s_waitcnt lgkmcnt(1)
	v_sub_f32_e32 v18, v16, v18
	v_sub_f32_e32 v19, v17, v19
	s_waitcnt lgkmcnt(0)
	v_sub_f32_e32 v20, v9, v20
	v_sub_f32_e32 v21, v10, v21
	;; [unrolled: 1-line block ×4, first 2 shown]
	v_fma_f32 v22, v22, 2.0, -v26
	v_fma_f32 v23, v23, 2.0, -v27
	v_lshl_add_u32 v34, v3, 4, v0
	v_and_b32_e32 v35, 1, v1
	v_fma_f32 v16, v16, 2.0, -v18
	v_fma_f32 v17, v17, 2.0, -v19
	;; [unrolled: 1-line block ×6, first 2 shown]
	s_barrier
	ds_write2_b64 v30, v[22:23], v[26:27] offset1:1
	ds_write2_b64 v34, v[14:15], v[28:29] offset1:1
	v_lshl_add_u32 v26, v7, 4, v0
	v_lshl_add_u32 v28, v6, 4, v0
	v_lshlrev_b32_e32 v27, 5, v35
	ds_write2_b64 v26, v[16:17], v[18:19] offset1:1
	ds_write2_b64 v30, v[9:10], v[20:21] offset0:30 offset1:31
	ds_write2_b64 v28, v[11:12], v[24:25] offset1:1
	s_waitcnt lgkmcnt(0)
	s_barrier
	global_load_dwordx4 v[9:12], v27, s[2:3]
	v_and_b32_e32 v36, 1, v3
	v_lshlrev_b32_e32 v29, 5, v36
	global_load_dwordx4 v[14:17], v29, s[2:3]
	global_load_dwordx4 v[18:21], v27, s[2:3] offset:16
	global_load_dwordx4 v[22:25], v29, s[2:3] offset:16
	v_lshlrev_b32_e32 v27, 3, v7
	v_sub_u32_e32 v38, v26, v27
	ds_read_b64 v[26:27], v38
	v_lshlrev_b32_e32 v29, 3, v6
	v_sub_u32_e32 v39, v28, v29
	ds_read_b64 v[28:29], v39
	ds_read2_b32 v[30:31], v8 offset0:30 offset1:31
	ds_read_b64 v[32:33], v8 offset:360
	s_waitcnt vmcnt(3) lgkmcnt(3)
	v_mul_f32_e32 v37, v10, v27
	v_mul_f32_e32 v40, v10, v26
	v_fma_f32 v26, v9, v26, -v37
	v_fmac_f32_e32 v40, v9, v27
	s_waitcnt lgkmcnt(2)
	v_mul_f32_e32 v9, v12, v29
	v_mul_f32_e32 v27, v12, v28
	v_fma_f32 v28, v11, v28, -v9
	v_fmac_f32_e32 v27, v11, v29
	ds_read2_b64 v[9:12], v8 offset0:25 offset1:30
	s_waitcnt vmcnt(2) lgkmcnt(2)
	v_mul_f32_e32 v29, v31, v15
	v_mul_f32_e32 v37, v15, v30
	v_fma_f32 v29, v14, v30, -v29
	v_fmac_f32_e32 v37, v31, v14
	s_waitcnt lgkmcnt(0)
	v_mul_f32_e32 v14, v10, v17
	v_mul_f32_e32 v30, v9, v17
	v_fma_f32 v31, v9, v16, -v14
	s_waitcnt vmcnt(1)
	v_mul_f32_e32 v9, v19, v12
	v_mul_f32_e32 v41, v19, v11
	v_fmac_f32_e32 v30, v10, v16
	v_fma_f32 v42, v18, v11, -v9
	v_fmac_f32_e32 v41, v18, v12
	ds_read2_b64 v[9:12], v8 offset0:35 offset1:40
	v_sub_f32_e32 v18, v40, v27
	v_add_f32_e32 v16, v28, v42
	v_add_f32_e32 v17, v27, v41
	v_sub_f32_e32 v46, v28, v42
	s_waitcnt lgkmcnt(0)
	v_mul_f32_e32 v14, v21, v12
	v_mul_f32_e32 v43, v21, v11
	v_fma_f32 v44, v20, v11, -v14
	s_waitcnt vmcnt(0)
	v_mul_f32_e32 v11, v10, v23
	v_mul_f32_e32 v23, v9, v23
	v_fmac_f32_e32 v43, v20, v12
	v_fma_f32 v12, v9, v22, -v11
	v_fmac_f32_e32 v23, v10, v22
	ds_read_b64 v[10:11], v13
	v_mul_f32_e32 v9, v33, v25
	v_fma_f32 v22, v32, v24, -v9
	v_lshlrev_b32_e32 v9, 3, v3
	v_sub_f32_e32 v19, v43, v41
	v_mul_f32_e32 v25, v32, v25
	v_sub_u32_e32 v9, v34, v9
	ds_read_b64 v[20:21], v9
	v_add_f32_e32 v32, v18, v19
	v_lshrrev_b32_e32 v18, 1, v1
	v_sub_f32_e32 v14, v26, v28
	v_sub_f32_e32 v15, v44, v42
	s_waitcnt lgkmcnt(1)
	v_fma_f32 v16, -0.5, v16, v10
	v_fma_f32 v17, -0.5, v17, v11
	v_mul_u32_u24_e32 v18, 10, v18
	v_fmac_f32_e32 v25, v33, v24
	v_add_f32_e32 v24, v14, v15
	v_add_f32_e32 v14, v10, v26
	;; [unrolled: 1-line block ×3, first 2 shown]
	v_or_b32_e32 v33, v18, v35
	v_sub_f32_e32 v34, v40, v43
	v_mov_b32_e32 v18, v16
	v_mov_b32_e32 v19, v17
	v_sub_f32_e32 v45, v26, v44
	v_add_f32_e32 v14, v14, v28
	v_add_f32_e32 v15, v15, v27
	v_fmac_f32_e32 v18, 0x3f737871, v34
	v_sub_f32_e32 v35, v27, v41
	v_fmac_f32_e32 v19, 0xbf737871, v45
	v_add_f32_e32 v14, v14, v42
	v_add_f32_e32 v15, v15, v41
	v_fmac_f32_e32 v18, 0x3f167918, v35
	v_fmac_f32_e32 v19, 0xbf167918, v46
	v_add_f32_e32 v14, v14, v44
	v_add_f32_e32 v15, v15, v43
	v_fmac_f32_e32 v18, 0x3e9e377a, v24
	v_fmac_f32_e32 v19, 0x3e9e377a, v32
	v_lshl_add_u32 v33, v33, 3, v0
	s_waitcnt lgkmcnt(0)
	s_barrier
	ds_write2_b64 v33, v[14:15], v[18:19] offset1:2
	v_add_f32_e32 v14, v26, v44
	v_fma_f32 v10, -0.5, v14, v10
	v_sub_f32_e32 v14, v28, v26
	v_sub_f32_e32 v15, v42, v44
	v_add_f32_e32 v15, v14, v15
	v_mov_b32_e32 v14, v10
	v_fmac_f32_e32 v14, 0xbf737871, v35
	v_fmac_f32_e32 v10, 0x3f737871, v35
	;; [unrolled: 1-line block ×6, first 2 shown]
	v_add_f32_e32 v15, v40, v43
	v_fmac_f32_e32 v11, -0.5, v15
	v_sub_f32_e32 v15, v27, v40
	v_sub_f32_e32 v18, v41, v43
	v_add_f32_e32 v18, v15, v18
	v_mov_b32_e32 v15, v11
	v_fmac_f32_e32 v15, 0x3f737871, v46
	v_fmac_f32_e32 v11, 0xbf737871, v46
	;; [unrolled: 1-line block ×6, first 2 shown]
	ds_write2_b64 v33, v[14:15], v[10:11] offset0:4 offset1:6
	v_sub_f32_e32 v10, v29, v31
	v_sub_f32_e32 v11, v22, v12
	v_fmac_f32_e32 v16, 0xbf737871, v34
	v_fmac_f32_e32 v17, 0x3f737871, v45
	v_add_f32_e32 v11, v10, v11
	v_add_f32_e32 v10, v31, v12
	v_fmac_f32_e32 v16, 0xbf167918, v35
	v_fmac_f32_e32 v17, 0x3f167918, v46
	v_fma_f32 v10, -0.5, v10, v20
	v_fmac_f32_e32 v16, 0x3e9e377a, v24
	v_fmac_f32_e32 v17, 0x3e9e377a, v32
	v_sub_f32_e32 v15, v37, v25
	v_mov_b32_e32 v14, v10
	ds_write_b64 v33, v[16:17] offset:64
	v_fmac_f32_e32 v14, 0x3f737871, v15
	v_sub_f32_e32 v17, v30, v23
	v_fmac_f32_e32 v10, 0xbf737871, v15
	v_fmac_f32_e32 v14, 0x3f167918, v17
	;; [unrolled: 1-line block ×3, first 2 shown]
	v_add_f32_e32 v16, v29, v22
	v_fmac_f32_e32 v14, 0x3e9e377a, v11
	v_fmac_f32_e32 v10, 0x3e9e377a, v11
	v_add_f32_e32 v11, v20, v29
	v_fma_f32 v20, -0.5, v16, v20
	v_sub_f32_e32 v16, v31, v29
	v_sub_f32_e32 v18, v12, v22
	v_add_f32_e32 v18, v16, v18
	v_mov_b32_e32 v16, v20
	v_fmac_f32_e32 v16, 0xbf737871, v17
	v_fmac_f32_e32 v20, 0x3f737871, v17
	;; [unrolled: 1-line block ×4, first 2 shown]
	v_add_f32_e32 v11, v11, v31
	v_add_f32_e32 v15, v21, v37
	;; [unrolled: 1-line block ×4, first 2 shown]
	v_fmac_f32_e32 v16, 0x3e9e377a, v18
	v_fmac_f32_e32 v20, 0x3e9e377a, v18
	v_add_f32_e32 v15, v15, v23
	v_add_f32_e32 v18, v11, v22
	;; [unrolled: 1-line block ×4, first 2 shown]
	v_fma_f32 v11, -0.5, v11, v21
	v_sub_f32_e32 v15, v37, v30
	v_sub_f32_e32 v17, v25, v23
	;; [unrolled: 1-line block ×3, first 2 shown]
	v_add_f32_e32 v17, v15, v17
	v_mov_b32_e32 v15, v11
	v_sub_f32_e32 v12, v31, v12
	v_fmac_f32_e32 v15, 0xbf737871, v22
	v_fmac_f32_e32 v11, 0x3f737871, v22
	;; [unrolled: 1-line block ×6, first 2 shown]
	v_add_f32_e32 v17, v37, v25
	v_fmac_f32_e32 v21, -0.5, v17
	v_sub_f32_e32 v17, v30, v37
	v_sub_f32_e32 v23, v23, v25
	v_add_f32_e32 v23, v17, v23
	v_mov_b32_e32 v17, v21
	v_fmac_f32_e32 v17, 0x3f737871, v12
	v_fmac_f32_e32 v21, 0xbf737871, v12
	v_lshrrev_b32_e32 v12, 1, v3
	v_mul_lo_u32 v12, v12, 10
	v_fmac_f32_e32 v17, 0xbf167918, v22
	v_fmac_f32_e32 v21, 0x3f167918, v22
	;; [unrolled: 1-line block ×3, first 2 shown]
	v_or_b32_e32 v12, v12, v36
	v_lshl_add_u32 v12, v12, 3, v0
	v_fmac_f32_e32 v21, 0x3e9e377a, v23
	ds_write2_b64 v12, v[18:19], v[14:15] offset1:2
	ds_write2_b64 v12, v[16:17], v[20:21] offset0:4 offset1:6
	ds_write_b64 v12, v[10:11] offset:64
	v_lshlrev_b32_e32 v10, 2, v1
	v_mov_b32_e32 v11, 0
	v_lshlrev_b64 v[18:19], 3, v[10:11]
	v_lshlrev_b32_e32 v10, 2, v3
	v_lshlrev_b64 v[10:11], 3, v[10:11]
	v_mov_b32_e32 v12, s3
	v_add_co_u32_e64 v10, s[0:1], s2, v10
	v_addc_co_u32_e64 v11, s[0:1], v12, v11, s[0:1]
	s_waitcnt lgkmcnt(0)
	s_barrier
	global_load_dwordx4 v[14:17], v[10:11], off offset:64
	v_add_co_u32_e64 v30, s[0:1], s2, v18
	v_addc_co_u32_e64 v31, s[0:1], v12, v19, s[0:1]
	global_load_dwordx4 v[18:21], v[30:31], off offset:80
	global_load_dwordx4 v[22:25], v[10:11], off offset:80
	;; [unrolled: 1-line block ×3, first 2 shown]
	ds_read2_b64 v[30:33], v8 offset0:15 offset1:25
	ds_read2_b64 v[34:37], v8 offset0:30 offset1:35
	v_cmp_ne_u16_e64 s[0:1], 0, v4
	s_waitcnt vmcnt(3) lgkmcnt(1)
	v_mul_f32_e32 v10, v15, v31
	v_fma_f32 v12, v14, v30, -v10
	v_mul_f32_e32 v30, v15, v30
	v_mul_f32_e32 v10, v33, v17
	v_fmac_f32_e32 v30, v14, v31
	v_fma_f32 v31, v32, v16, -v10
	v_mul_f32_e32 v32, v32, v17
	v_fmac_f32_e32 v32, v33, v16
	ds_read2_b64 v[14:17], v8 offset0:40 offset1:45
	s_waitcnt vmcnt(2) lgkmcnt(1)
	v_mul_f32_e32 v10, v19, v35
	v_fma_f32 v33, v18, v34, -v10
	v_mul_f32_e32 v34, v19, v34
	v_fmac_f32_e32 v34, v18, v35
	s_waitcnt lgkmcnt(0)
	v_mul_f32_e32 v10, v21, v15
	v_fma_f32 v35, v20, v14, -v10
	s_waitcnt vmcnt(1)
	v_mul_f32_e32 v10, v37, v23
	v_fma_f32 v41, v36, v22, -v10
	v_mul_f32_e32 v36, v36, v23
	v_mul_f32_e32 v10, v17, v25
	v_fmac_f32_e32 v36, v37, v22
	v_fma_f32 v37, v16, v24, -v10
	ds_read_b64 v[10:11], v38
	v_mul_f32_e32 v40, v21, v14
	v_mul_f32_e32 v25, v16, v25
	v_fmac_f32_e32 v40, v20, v15
	v_fmac_f32_e32 v25, v17, v24
	ds_read_b64 v[14:15], v39
	ds_read_b64 v[16:17], v9
	;; [unrolled: 1-line block ×3, first 2 shown]
	s_waitcnt vmcnt(0) lgkmcnt(3)
	v_mul_f32_e32 v20, v27, v11
	v_mul_f32_e32 v23, v27, v10
	v_fma_f32 v22, v26, v10, -v20
	v_fmac_f32_e32 v23, v26, v11
	s_waitcnt lgkmcnt(2)
	v_mul_f32_e32 v10, v29, v15
	v_mul_f32_e32 v26, v29, v14
	v_fma_f32 v24, v28, v14, -v10
	v_fmac_f32_e32 v26, v28, v15
	v_add_f32_e32 v14, v24, v33
	v_add_f32_e32 v15, v26, v34
	v_sub_f32_e32 v10, v22, v24
	v_sub_f32_e32 v11, v35, v33
	s_waitcnt lgkmcnt(0)
	v_fma_f32 v14, -0.5, v14, v18
	v_fma_f32 v15, -0.5, v15, v19
	v_sub_f32_e32 v20, v23, v26
	v_sub_f32_e32 v21, v40, v34
	v_add_f32_e32 v27, v10, v11
	v_add_f32_e32 v10, v18, v22
	;; [unrolled: 1-line block ×4, first 2 shown]
	v_sub_f32_e32 v29, v23, v40
	v_mov_b32_e32 v20, v14
	v_mov_b32_e32 v21, v15
	v_sub_f32_e32 v39, v22, v35
	v_add_f32_e32 v10, v10, v24
	v_add_f32_e32 v11, v11, v26
	v_fmac_f32_e32 v20, 0x3f737871, v29
	v_sub_f32_e32 v38, v26, v34
	v_fmac_f32_e32 v21, 0xbf737871, v39
	v_sub_f32_e32 v42, v24, v33
	v_add_f32_e32 v10, v10, v33
	v_add_f32_e32 v11, v11, v34
	v_fmac_f32_e32 v20, 0x3f167918, v38
	v_fmac_f32_e32 v21, 0xbf167918, v42
	v_add_f32_e32 v10, v10, v35
	v_add_f32_e32 v11, v11, v40
	v_fmac_f32_e32 v20, 0x3e9e377a, v27
	v_fmac_f32_e32 v21, 0x3e9e377a, v28
	s_barrier
	ds_write2_b64 v8, v[10:11], v[20:21] offset1:10
	v_add_f32_e32 v10, v22, v35
	v_fma_f32 v18, -0.5, v10, v18
	v_sub_f32_e32 v10, v24, v22
	v_sub_f32_e32 v11, v33, v35
	v_add_f32_e32 v11, v10, v11
	v_mov_b32_e32 v10, v18
	v_fmac_f32_e32 v10, 0xbf737871, v38
	v_fmac_f32_e32 v18, 0x3f737871, v38
	;; [unrolled: 1-line block ×6, first 2 shown]
	v_add_f32_e32 v11, v23, v40
	v_fmac_f32_e32 v19, -0.5, v11
	v_sub_f32_e32 v11, v26, v23
	v_sub_f32_e32 v20, v34, v40
	v_add_f32_e32 v20, v11, v20
	v_mov_b32_e32 v11, v19
	v_fmac_f32_e32 v11, 0x3f737871, v42
	v_fmac_f32_e32 v19, 0xbf737871, v42
	v_fmac_f32_e32 v11, 0xbf167918, v39
	v_fmac_f32_e32 v19, 0x3f167918, v39
	v_fmac_f32_e32 v11, 0x3e9e377a, v20
	v_fmac_f32_e32 v19, 0x3e9e377a, v20
	ds_write2_b64 v8, v[10:11], v[18:19] offset0:20 offset1:30
	v_sub_f32_e32 v10, v12, v31
	v_sub_f32_e32 v11, v37, v41
	v_add_f32_e32 v11, v10, v11
	v_add_f32_e32 v10, v31, v41
	v_fma_f32 v10, -0.5, v10, v16
	v_sub_f32_e32 v19, v30, v25
	v_mov_b32_e32 v18, v10
	v_fmac_f32_e32 v18, 0x3f737871, v19
	v_sub_f32_e32 v21, v32, v36
	v_fmac_f32_e32 v10, 0xbf737871, v19
	v_fmac_f32_e32 v18, 0x3f167918, v21
	;; [unrolled: 1-line block ×3, first 2 shown]
	v_add_f32_e32 v20, v12, v37
	v_fmac_f32_e32 v18, 0x3e9e377a, v11
	v_fmac_f32_e32 v10, 0x3e9e377a, v11
	v_add_f32_e32 v11, v16, v12
	v_fma_f32 v16, -0.5, v20, v16
	v_sub_f32_e32 v20, v31, v12
	v_sub_f32_e32 v22, v41, v37
	v_add_f32_e32 v22, v20, v22
	v_mov_b32_e32 v20, v16
	v_fmac_f32_e32 v20, 0xbf737871, v21
	v_fmac_f32_e32 v16, 0x3f737871, v21
	;; [unrolled: 1-line block ×4, first 2 shown]
	v_add_f32_e32 v11, v11, v31
	v_add_f32_e32 v19, v17, v30
	;; [unrolled: 1-line block ×4, first 2 shown]
	v_fmac_f32_e32 v20, 0x3e9e377a, v22
	v_fmac_f32_e32 v16, 0x3e9e377a, v22
	v_add_f32_e32 v19, v19, v36
	v_add_f32_e32 v22, v11, v37
	;; [unrolled: 1-line block ×4, first 2 shown]
	v_fma_f32 v11, -0.5, v11, v17
	v_sub_f32_e32 v19, v30, v32
	v_sub_f32_e32 v21, v25, v36
	;; [unrolled: 1-line block ×3, first 2 shown]
	v_add_f32_e32 v21, v19, v21
	v_mov_b32_e32 v19, v11
	v_sub_f32_e32 v24, v31, v41
	v_fmac_f32_e32 v19, 0xbf737871, v12
	v_fmac_f32_e32 v11, 0x3f737871, v12
	;; [unrolled: 1-line block ×6, first 2 shown]
	v_add_f32_e32 v21, v30, v25
	v_fmac_f32_e32 v17, -0.5, v21
	v_sub_f32_e32 v21, v32, v30
	v_sub_f32_e32 v25, v36, v25
	v_fmac_f32_e32 v14, 0xbf737871, v29
	v_fmac_f32_e32 v15, 0x3f737871, v39
	v_add_f32_e32 v25, v21, v25
	v_mov_b32_e32 v21, v17
	v_fmac_f32_e32 v14, 0xbf167918, v38
	v_fmac_f32_e32 v15, 0x3f167918, v42
	;; [unrolled: 1-line block ×10, first 2 shown]
	ds_write_b64 v8, v[14:15] offset:320
	ds_write2_b64 v9, v[22:23], v[18:19] offset1:10
	ds_write2_b64 v9, v[20:21], v[16:17] offset0:20 offset1:30
	ds_write_b64 v9, v[10:11] offset:320
	s_waitcnt lgkmcnt(0)
	s_barrier
	ds_read_b64 v[11:12], v13
	v_sub_u32_e32 v14, v0, v2
                                        ; implicit-def: $vgpr9
                                        ; implicit-def: $vgpr15
                                        ; implicit-def: $vgpr16
	s_and_saveexec_b64 s[8:9], s[0:1]
	s_xor_b64 s[0:1], exec, s[8:9]
	s_cbranch_execz .LBB0_6
; %bb.5:
	v_mov_b32_e32 v2, 3
	v_lshlrev_b32_sdwa v2, v2, v4 dst_sel:DWORD dst_unused:UNUSED_PAD src0_sel:DWORD src1_sel:WORD_0
	global_load_dwordx2 v[8:9], v2, s[2:3] offset:384
	ds_read_b64 v[15:16], v14 offset:400
	s_waitcnt lgkmcnt(0)
	v_sub_f32_e32 v10, v11, v15
	v_add_f32_e32 v2, v15, v11
	v_add_f32_e32 v4, v16, v12
	v_sub_f32_e32 v11, v12, v16
	v_mul_f32_e32 v10, 0.5, v10
	v_mul_f32_e32 v4, 0.5, v4
	;; [unrolled: 1-line block ×3, first 2 shown]
	s_waitcnt vmcnt(0)
	v_mul_f32_e32 v12, v9, v10
	v_fma_f32 v16, v4, v9, v11
	v_fma_f32 v11, v4, v9, -v11
	v_fma_f32 v15, 0.5, v2, v12
	v_fma_f32 v2, v2, 0.5, -v12
	v_fma_f32 v16, -v8, v10, v16
	v_fmac_f32_e32 v15, v8, v4
	v_fma_f32 v9, -v8, v4, v2
	v_fma_f32 v10, -v8, v10, v11
                                        ; implicit-def: $vgpr11_vgpr12
.LBB0_6:
	s_andn2_saveexec_b64 s[0:1], s[0:1]
	s_cbranch_execz .LBB0_8
; %bb.7:
	ds_read_b32 v2, v0 offset:204
	s_waitcnt lgkmcnt(1)
	v_add_f32_e32 v15, v11, v12
	v_sub_f32_e32 v9, v11, v12
	v_mov_b32_e32 v16, 0
	v_mov_b32_e32 v10, 0
	s_waitcnt lgkmcnt(0)
	v_xor_b32_e32 v2, 0x80000000, v2
	ds_write_b32 v0, v2 offset:204
.LBB0_8:
	s_or_b64 exec, exec, s[0:1]
	v_mov_b32_e32 v4, 0
	s_waitcnt lgkmcnt(0)
	v_lshlrev_b64 v[11:12], 3, v[3:4]
	v_mov_b32_e32 v2, s3
	v_add_co_u32_e64 v11, s[0:1], s2, v11
	v_addc_co_u32_e64 v12, s[0:1], v2, v12, s[0:1]
	global_load_dwordx2 v[11:12], v[11:12], off offset:384
	v_mov_b32_e32 v8, v4
	v_lshlrev_b64 v[17:18], 3, v[7:8]
	v_lshl_add_u32 v21, v7, 3, v0
	v_add_co_u32_e64 v17, s[0:1], s2, v17
	v_addc_co_u32_e64 v18, s[0:1], v2, v18, s[0:1]
	global_load_dwordx2 v[17:18], v[17:18], off offset:384
	v_mov_b32_e32 v2, v4
	s_add_u32 s0, s2, 0x180
	v_lshlrev_b64 v[19:20], 3, v[1:2]
	s_addc_u32 s1, s3, 0
	v_mov_b32_e32 v2, s1
	v_add_co_u32_e64 v19, s[0:1], s0, v19
	v_addc_co_u32_e64 v20, s[0:1], v2, v20, s[0:1]
	global_load_dwordx2 v[19:20], v[19:20], off offset:120
	v_mov_b32_e32 v7, v4
	ds_write2_b32 v13, v15, v16 offset1:1
	ds_write_b64 v14, v[9:10] offset:400
	v_lshlrev_b64 v[15:16], 3, v[6:7]
	v_mov_b32_e32 v22, s3
	v_add_co_u32_e64 v15, s[0:1], s2, v15
	v_lshl_add_u32 v10, v3, 3, v0
	v_addc_co_u32_e64 v16, s[0:1], v22, v16, s[0:1]
	ds_read_b64 v[2:3], v10
	ds_read_b64 v[8:9], v14 offset:360
	global_load_dwordx2 v[15:16], v[15:16], off offset:384
	s_waitcnt lgkmcnt(0)
	v_add_f32_e32 v7, v2, v8
	v_sub_f32_e32 v2, v2, v8
	v_add_f32_e32 v22, v3, v9
	v_sub_f32_e32 v3, v3, v9
	v_mul_f32_e32 v2, 0.5, v2
	v_mul_f32_e32 v8, 0.5, v22
	;; [unrolled: 1-line block ×3, first 2 shown]
	s_waitcnt vmcnt(3)
	v_mul_f32_e32 v9, v12, v2
	v_fma_f32 v22, v8, v12, v3
	v_fma_f32 v3, v8, v12, -v3
	v_fma_f32 v12, 0.5, v7, v9
	v_fma_f32 v22, -v11, v2, v22
	v_fma_f32 v7, v7, 0.5, -v9
	v_fmac_f32_e32 v12, v11, v8
	v_fma_f32 v3, -v11, v2, v3
	v_fma_f32 v2, -v11, v8, v7
	ds_write2_b32 v10, v12, v22 offset1:1
	ds_write_b64 v14, v[2:3] offset:360
	ds_read_b64 v[2:3], v21
	ds_read_b64 v[7:8], v14 offset:320
	s_waitcnt lgkmcnt(0)
	v_add_f32_e32 v9, v2, v7
	v_sub_f32_e32 v2, v2, v7
	v_add_f32_e32 v10, v3, v8
	v_sub_f32_e32 v3, v3, v8
	v_mul_f32_e32 v2, 0.5, v2
	v_mul_f32_e32 v7, 0.5, v10
	;; [unrolled: 1-line block ×3, first 2 shown]
	s_waitcnt vmcnt(2)
	v_mul_f32_e32 v8, v18, v2
	v_fma_f32 v10, v7, v18, v3
	v_fma_f32 v11, 0.5, v9, v8
	v_fma_f32 v3, v7, v18, -v3
	v_fma_f32 v10, -v17, v2, v10
	v_fma_f32 v8, v9, 0.5, -v8
	v_fmac_f32_e32 v11, v17, v7
	v_fma_f32 v3, -v17, v2, v3
	v_fma_f32 v2, -v17, v7, v8
	ds_write2_b32 v21, v11, v10 offset1:1
	ds_write_b64 v14, v[2:3] offset:320
	ds_read_b64 v[2:3], v13 offset:120
	ds_read_b64 v[7:8], v14 offset:280
	v_lshl_add_u32 v9, v6, 3, v0
	s_waitcnt lgkmcnt(0)
	v_add_f32_e32 v6, v2, v7
	v_sub_f32_e32 v2, v2, v7
	v_add_f32_e32 v10, v3, v8
	v_sub_f32_e32 v3, v3, v8
	v_mul_f32_e32 v2, 0.5, v2
	v_mul_f32_e32 v7, 0.5, v10
	;; [unrolled: 1-line block ×3, first 2 shown]
	s_waitcnt vmcnt(1)
	v_mul_f32_e32 v8, v20, v2
	v_fma_f32 v10, v7, v20, v3
	v_fma_f32 v11, 0.5, v6, v8
	v_fma_f32 v3, v7, v20, -v3
	v_fma_f32 v10, -v19, v2, v10
	v_fma_f32 v6, v6, 0.5, -v8
	v_fmac_f32_e32 v11, v19, v7
	v_fma_f32 v3, -v19, v2, v3
	v_fma_f32 v2, -v19, v7, v6
	ds_write2_b32 v13, v11, v10 offset0:30 offset1:31
	ds_write_b64 v14, v[2:3] offset:280
	ds_read_b64 v[2:3], v9
	ds_read_b64 v[6:7], v14 offset:240
	s_waitcnt lgkmcnt(0)
	v_add_f32_e32 v8, v2, v6
	v_sub_f32_e32 v2, v2, v6
	v_add_f32_e32 v10, v3, v7
	v_sub_f32_e32 v3, v3, v7
	v_mul_f32_e32 v2, 0.5, v2
	v_mul_f32_e32 v6, 0.5, v10
	;; [unrolled: 1-line block ×3, first 2 shown]
	s_waitcnt vmcnt(0)
	v_mul_f32_e32 v7, v16, v2
	v_fma_f32 v10, v6, v16, v3
	v_fma_f32 v11, 0.5, v8, v7
	v_fma_f32 v3, v6, v16, -v3
	v_fma_f32 v10, -v15, v2, v10
	v_fma_f32 v7, v8, 0.5, -v7
	v_fmac_f32_e32 v11, v15, v6
	v_fma_f32 v3, -v15, v2, v3
	v_fma_f32 v2, -v15, v6, v7
	ds_write2_b32 v9, v11, v10 offset1:1
	ds_write_b64 v14, v[2:3] offset:240
	s_waitcnt lgkmcnt(0)
	s_barrier
	s_and_saveexec_b64 s[0:1], vcc
	s_cbranch_execz .LBB0_11
; %bb.9:
	v_mad_u64_u32 v[6:7], s[0:1], s6, v5, 0
	s_load_dwordx2 s[0:1], s[4:5], 0x58
	v_lshl_add_u32 v0, v1, 3, v0
	v_mov_b32_e32 v2, v7
	v_mad_u64_u32 v[7:8], s[2:3], s7, v5, v[2:3]
	v_mov_b32_e32 v2, v4
	s_waitcnt lgkmcnt(0)
	v_mov_b32_e32 v3, s1
	v_lshlrev_b64 v[5:6], 3, v[6:7]
	ds_read2_b64 v[7:10], v0 offset1:5
	v_add_co_u32_e32 v5, vcc, s0, v5
	v_addc_co_u32_e32 v6, vcc, v3, v6, vcc
	v_lshlrev_b64 v[2:3], 3, v[1:2]
	v_add_co_u32_e32 v2, vcc, v5, v2
	v_addc_co_u32_e32 v3, vcc, v6, v3, vcc
	s_waitcnt lgkmcnt(0)
	global_store_dwordx2 v[2:3], v[7:8], off
	v_add_u32_e32 v3, 5, v1
	v_lshlrev_b64 v[2:3], 3, v[3:4]
	v_add_co_u32_e32 v2, vcc, v5, v2
	v_addc_co_u32_e32 v3, vcc, v6, v3, vcc
	global_store_dwordx2 v[2:3], v[9:10], off
	v_add_u32_e32 v3, 10, v1
	ds_read2_b64 v[7:10], v0 offset0:10 offset1:15
	v_lshlrev_b64 v[2:3], 3, v[3:4]
	v_add_co_u32_e32 v2, vcc, v5, v2
	v_addc_co_u32_e32 v3, vcc, v6, v3, vcc
	s_waitcnt lgkmcnt(0)
	global_store_dwordx2 v[2:3], v[7:8], off
	v_add_u32_e32 v3, 15, v1
	v_lshlrev_b64 v[2:3], 3, v[3:4]
	v_add_co_u32_e32 v2, vcc, v5, v2
	v_addc_co_u32_e32 v3, vcc, v6, v3, vcc
	global_store_dwordx2 v[2:3], v[9:10], off
	v_add_u32_e32 v3, 20, v1
	ds_read2_b64 v[7:10], v0 offset0:20 offset1:25
	;; [unrolled: 12-line block ×4, first 2 shown]
	v_lshlrev_b64 v[2:3], 3, v[3:4]
	v_add_co_u32_e32 v2, vcc, v5, v2
	v_addc_co_u32_e32 v3, vcc, v6, v3, vcc
	s_waitcnt lgkmcnt(0)
	global_store_dwordx2 v[2:3], v[7:8], off
	v_add_u32_e32 v3, 45, v1
	v_lshlrev_b64 v[2:3], 3, v[3:4]
	v_add_co_u32_e32 v2, vcc, v5, v2
	v_addc_co_u32_e32 v3, vcc, v6, v3, vcc
	v_cmp_eq_u32_e32 vcc, 4, v1
	global_store_dwordx2 v[2:3], v[9:10], off
	s_and_b64 exec, exec, vcc
	s_cbranch_execz .LBB0_11
; %bb.10:
	ds_read_b64 v[0:1], v0 offset:368
	s_waitcnt lgkmcnt(0)
	global_store_dwordx2 v[5:6], v[0:1], off offset:400
.LBB0_11:
	s_endpgm
	.section	.rodata,"a",@progbits
	.p2align	6, 0x0
	.amdhsa_kernel fft_rtc_fwd_len50_factors_2_5_5_wgs_125_tpt_5_dim1_sp_op_CI_CI_unitstride_sbrr_R2C_dirReg
		.amdhsa_group_segment_fixed_size 0
		.amdhsa_private_segment_fixed_size 0
		.amdhsa_kernarg_size 96
		.amdhsa_user_sgpr_count 6
		.amdhsa_user_sgpr_private_segment_buffer 1
		.amdhsa_user_sgpr_dispatch_ptr 0
		.amdhsa_user_sgpr_queue_ptr 0
		.amdhsa_user_sgpr_kernarg_segment_ptr 1
		.amdhsa_user_sgpr_dispatch_id 0
		.amdhsa_user_sgpr_flat_scratch_init 0
		.amdhsa_user_sgpr_private_segment_size 0
		.amdhsa_uses_dynamic_stack 0
		.amdhsa_system_sgpr_private_segment_wavefront_offset 0
		.amdhsa_system_sgpr_workgroup_id_x 1
		.amdhsa_system_sgpr_workgroup_id_y 0
		.amdhsa_system_sgpr_workgroup_id_z 0
		.amdhsa_system_sgpr_workgroup_info 0
		.amdhsa_system_vgpr_workitem_id 0
		.amdhsa_next_free_vgpr 47
		.amdhsa_next_free_sgpr 14
		.amdhsa_reserve_vcc 1
		.amdhsa_reserve_flat_scratch 0
		.amdhsa_float_round_mode_32 0
		.amdhsa_float_round_mode_16_64 0
		.amdhsa_float_denorm_mode_32 3
		.amdhsa_float_denorm_mode_16_64 3
		.amdhsa_dx10_clamp 1
		.amdhsa_ieee_mode 1
		.amdhsa_fp16_overflow 0
		.amdhsa_exception_fp_ieee_invalid_op 0
		.amdhsa_exception_fp_denorm_src 0
		.amdhsa_exception_fp_ieee_div_zero 0
		.amdhsa_exception_fp_ieee_overflow 0
		.amdhsa_exception_fp_ieee_underflow 0
		.amdhsa_exception_fp_ieee_inexact 0
		.amdhsa_exception_int_div_zero 0
	.end_amdhsa_kernel
	.text
.Lfunc_end0:
	.size	fft_rtc_fwd_len50_factors_2_5_5_wgs_125_tpt_5_dim1_sp_op_CI_CI_unitstride_sbrr_R2C_dirReg, .Lfunc_end0-fft_rtc_fwd_len50_factors_2_5_5_wgs_125_tpt_5_dim1_sp_op_CI_CI_unitstride_sbrr_R2C_dirReg
                                        ; -- End function
	.section	.AMDGPU.csdata,"",@progbits
; Kernel info:
; codeLenInByte = 4392
; NumSgprs: 18
; NumVgprs: 47
; ScratchSize: 0
; MemoryBound: 0
; FloatMode: 240
; IeeeMode: 1
; LDSByteSize: 0 bytes/workgroup (compile time only)
; SGPRBlocks: 2
; VGPRBlocks: 11
; NumSGPRsForWavesPerEU: 18
; NumVGPRsForWavesPerEU: 47
; Occupancy: 5
; WaveLimiterHint : 1
; COMPUTE_PGM_RSRC2:SCRATCH_EN: 0
; COMPUTE_PGM_RSRC2:USER_SGPR: 6
; COMPUTE_PGM_RSRC2:TRAP_HANDLER: 0
; COMPUTE_PGM_RSRC2:TGID_X_EN: 1
; COMPUTE_PGM_RSRC2:TGID_Y_EN: 0
; COMPUTE_PGM_RSRC2:TGID_Z_EN: 0
; COMPUTE_PGM_RSRC2:TIDIG_COMP_CNT: 0
	.type	__hip_cuid_e9ccafd162e99e50,@object ; @__hip_cuid_e9ccafd162e99e50
	.section	.bss,"aw",@nobits
	.globl	__hip_cuid_e9ccafd162e99e50
__hip_cuid_e9ccafd162e99e50:
	.byte	0                               ; 0x0
	.size	__hip_cuid_e9ccafd162e99e50, 1

	.ident	"AMD clang version 19.0.0git (https://github.com/RadeonOpenCompute/llvm-project roc-6.4.0 25133 c7fe45cf4b819c5991fe208aaa96edf142730f1d)"
	.section	".note.GNU-stack","",@progbits
	.addrsig
	.addrsig_sym __hip_cuid_e9ccafd162e99e50
	.amdgpu_metadata
---
amdhsa.kernels:
  - .args:
      - .actual_access:  read_only
        .address_space:  global
        .offset:         0
        .size:           8
        .value_kind:     global_buffer
      - .actual_access:  read_only
        .address_space:  global
        .offset:         8
        .size:           8
        .value_kind:     global_buffer
      - .actual_access:  read_only
        .address_space:  global
        .offset:         16
        .size:           8
        .value_kind:     global_buffer
      - .actual_access:  read_only
        .address_space:  global
        .offset:         24
        .size:           8
        .value_kind:     global_buffer
      - .offset:         32
        .size:           8
        .value_kind:     by_value
      - .actual_access:  read_only
        .address_space:  global
        .offset:         40
        .size:           8
        .value_kind:     global_buffer
      - .actual_access:  read_only
        .address_space:  global
        .offset:         48
        .size:           8
        .value_kind:     global_buffer
      - .offset:         56
        .size:           4
        .value_kind:     by_value
      - .actual_access:  read_only
        .address_space:  global
        .offset:         64
        .size:           8
        .value_kind:     global_buffer
      - .actual_access:  read_only
        .address_space:  global
        .offset:         72
        .size:           8
        .value_kind:     global_buffer
      - .actual_access:  read_only
        .address_space:  global
        .offset:         80
        .size:           8
        .value_kind:     global_buffer
      - .actual_access:  write_only
        .address_space:  global
        .offset:         88
        .size:           8
        .value_kind:     global_buffer
    .group_segment_fixed_size: 0
    .kernarg_segment_align: 8
    .kernarg_segment_size: 96
    .language:       OpenCL C
    .language_version:
      - 2
      - 0
    .max_flat_workgroup_size: 125
    .name:           fft_rtc_fwd_len50_factors_2_5_5_wgs_125_tpt_5_dim1_sp_op_CI_CI_unitstride_sbrr_R2C_dirReg
    .private_segment_fixed_size: 0
    .sgpr_count:     18
    .sgpr_spill_count: 0
    .symbol:         fft_rtc_fwd_len50_factors_2_5_5_wgs_125_tpt_5_dim1_sp_op_CI_CI_unitstride_sbrr_R2C_dirReg.kd
    .uniform_work_group_size: 1
    .uses_dynamic_stack: false
    .vgpr_count:     47
    .vgpr_spill_count: 0
    .wavefront_size: 64
amdhsa.target:   amdgcn-amd-amdhsa--gfx906
amdhsa.version:
  - 1
  - 2
...

	.end_amdgpu_metadata
